;; amdgpu-corpus repo=ROCm/rocFFT kind=compiled arch=gfx1030 opt=O3
	.text
	.amdgcn_target "amdgcn-amd-amdhsa--gfx1030"
	.amdhsa_code_object_version 6
	.protected	fft_rtc_fwd_len768_factors_16_3_16_wgs_48_tpt_48_halfLds_half_op_CI_CI_unitstride_sbrr_C2R_dirReg ; -- Begin function fft_rtc_fwd_len768_factors_16_3_16_wgs_48_tpt_48_halfLds_half_op_CI_CI_unitstride_sbrr_C2R_dirReg
	.globl	fft_rtc_fwd_len768_factors_16_3_16_wgs_48_tpt_48_halfLds_half_op_CI_CI_unitstride_sbrr_C2R_dirReg
	.p2align	8
	.type	fft_rtc_fwd_len768_factors_16_3_16_wgs_48_tpt_48_halfLds_half_op_CI_CI_unitstride_sbrr_C2R_dirReg,@function
fft_rtc_fwd_len768_factors_16_3_16_wgs_48_tpt_48_halfLds_half_op_CI_CI_unitstride_sbrr_C2R_dirReg: ; @fft_rtc_fwd_len768_factors_16_3_16_wgs_48_tpt_48_halfLds_half_op_CI_CI_unitstride_sbrr_C2R_dirReg
; %bb.0:
	s_clause 0x2
	s_load_dwordx4 s[12:15], s[4:5], 0x0
	s_load_dwordx4 s[8:11], s[4:5], 0x58
	;; [unrolled: 1-line block ×3, first 2 shown]
	v_mul_u32_u24_e32 v1, 0x556, v0
	v_mov_b32_e32 v3, 0
	v_mov_b32_e32 v7, 0
	;; [unrolled: 1-line block ×3, first 2 shown]
	v_add_nc_u32_sdwa v9, s6, v1 dst_sel:DWORD dst_unused:UNUSED_PAD src0_sel:DWORD src1_sel:WORD_1
	v_mov_b32_e32 v10, v3
	s_waitcnt lgkmcnt(0)
	v_cmp_lt_u64_e64 s0, s[14:15], 2
	s_and_b32 vcc_lo, exec_lo, s0
	s_cbranch_vccnz .LBB0_8
; %bb.1:
	s_load_dwordx2 s[0:1], s[4:5], 0x10
	v_mov_b32_e32 v7, 0
	v_mov_b32_e32 v8, 0
	s_add_u32 s2, s18, 8
	s_addc_u32 s3, s19, 0
	v_mov_b32_e32 v1, v7
	s_add_u32 s6, s16, 8
	v_mov_b32_e32 v2, v8
	s_addc_u32 s7, s17, 0
	s_mov_b64 s[22:23], 1
	s_waitcnt lgkmcnt(0)
	s_add_u32 s20, s0, 8
	s_addc_u32 s21, s1, 0
.LBB0_2:                                ; =>This Inner Loop Header: Depth=1
	s_load_dwordx2 s[24:25], s[20:21], 0x0
                                        ; implicit-def: $vgpr5_vgpr6
	s_mov_b32 s0, exec_lo
	s_waitcnt lgkmcnt(0)
	v_or_b32_e32 v4, s25, v10
	v_cmpx_ne_u64_e32 0, v[3:4]
	s_xor_b32 s1, exec_lo, s0
	s_cbranch_execz .LBB0_4
; %bb.3:                                ;   in Loop: Header=BB0_2 Depth=1
	v_cvt_f32_u32_e32 v4, s24
	v_cvt_f32_u32_e32 v5, s25
	s_sub_u32 s0, 0, s24
	s_subb_u32 s26, 0, s25
	v_fmac_f32_e32 v4, 0x4f800000, v5
	v_rcp_f32_e32 v4, v4
	v_mul_f32_e32 v4, 0x5f7ffffc, v4
	v_mul_f32_e32 v5, 0x2f800000, v4
	v_trunc_f32_e32 v5, v5
	v_fmac_f32_e32 v4, 0xcf800000, v5
	v_cvt_u32_f32_e32 v5, v5
	v_cvt_u32_f32_e32 v4, v4
	v_mul_lo_u32 v6, s0, v5
	v_mul_hi_u32 v11, s0, v4
	v_mul_lo_u32 v12, s26, v4
	v_add_nc_u32_e32 v6, v11, v6
	v_mul_lo_u32 v11, s0, v4
	v_add_nc_u32_e32 v6, v6, v12
	v_mul_hi_u32 v12, v4, v11
	v_mul_lo_u32 v13, v4, v6
	v_mul_hi_u32 v14, v4, v6
	v_mul_hi_u32 v15, v5, v11
	v_mul_lo_u32 v11, v5, v11
	v_mul_hi_u32 v16, v5, v6
	v_mul_lo_u32 v6, v5, v6
	v_add_co_u32 v12, vcc_lo, v12, v13
	v_add_co_ci_u32_e32 v13, vcc_lo, 0, v14, vcc_lo
	v_add_co_u32 v11, vcc_lo, v12, v11
	v_add_co_ci_u32_e32 v11, vcc_lo, v13, v15, vcc_lo
	v_add_co_ci_u32_e32 v12, vcc_lo, 0, v16, vcc_lo
	v_add_co_u32 v6, vcc_lo, v11, v6
	v_add_co_ci_u32_e32 v11, vcc_lo, 0, v12, vcc_lo
	v_add_co_u32 v4, vcc_lo, v4, v6
	v_add_co_ci_u32_e32 v5, vcc_lo, v5, v11, vcc_lo
	v_mul_hi_u32 v6, s0, v4
	v_mul_lo_u32 v12, s26, v4
	v_mul_lo_u32 v11, s0, v5
	v_add_nc_u32_e32 v6, v6, v11
	v_mul_lo_u32 v11, s0, v4
	v_add_nc_u32_e32 v6, v6, v12
	v_mul_hi_u32 v12, v4, v11
	v_mul_lo_u32 v13, v4, v6
	v_mul_hi_u32 v14, v4, v6
	v_mul_hi_u32 v15, v5, v11
	v_mul_lo_u32 v11, v5, v11
	v_mul_hi_u32 v16, v5, v6
	v_mul_lo_u32 v6, v5, v6
	v_add_co_u32 v12, vcc_lo, v12, v13
	v_add_co_ci_u32_e32 v13, vcc_lo, 0, v14, vcc_lo
	v_add_co_u32 v11, vcc_lo, v12, v11
	v_add_co_ci_u32_e32 v11, vcc_lo, v13, v15, vcc_lo
	v_add_co_ci_u32_e32 v12, vcc_lo, 0, v16, vcc_lo
	v_add_co_u32 v6, vcc_lo, v11, v6
	v_add_co_ci_u32_e32 v11, vcc_lo, 0, v12, vcc_lo
	v_add_co_u32 v6, vcc_lo, v4, v6
	v_add_co_ci_u32_e32 v13, vcc_lo, v5, v11, vcc_lo
	v_mul_hi_u32 v15, v9, v6
	v_mad_u64_u32 v[11:12], null, v10, v6, 0
	v_mad_u64_u32 v[4:5], null, v9, v13, 0
	;; [unrolled: 1-line block ×3, first 2 shown]
	v_add_co_u32 v4, vcc_lo, v15, v4
	v_add_co_ci_u32_e32 v5, vcc_lo, 0, v5, vcc_lo
	v_add_co_u32 v4, vcc_lo, v4, v11
	v_add_co_ci_u32_e32 v4, vcc_lo, v5, v12, vcc_lo
	v_add_co_ci_u32_e32 v5, vcc_lo, 0, v14, vcc_lo
	v_add_co_u32 v11, vcc_lo, v4, v13
	v_add_co_ci_u32_e32 v6, vcc_lo, 0, v5, vcc_lo
	v_mul_lo_u32 v12, s25, v11
	v_mad_u64_u32 v[4:5], null, s24, v11, 0
	v_mul_lo_u32 v13, s24, v6
	v_sub_co_u32 v4, vcc_lo, v9, v4
	v_add3_u32 v5, v5, v13, v12
	v_sub_nc_u32_e32 v12, v10, v5
	v_subrev_co_ci_u32_e64 v12, s0, s25, v12, vcc_lo
	v_add_co_u32 v13, s0, v11, 2
	v_add_co_ci_u32_e64 v14, s0, 0, v6, s0
	v_sub_co_u32 v15, s0, v4, s24
	v_sub_co_ci_u32_e32 v5, vcc_lo, v10, v5, vcc_lo
	v_subrev_co_ci_u32_e64 v12, s0, 0, v12, s0
	v_cmp_le_u32_e32 vcc_lo, s24, v15
	v_cmp_eq_u32_e64 s0, s25, v5
	v_cndmask_b32_e64 v15, 0, -1, vcc_lo
	v_cmp_le_u32_e32 vcc_lo, s25, v12
	v_cndmask_b32_e64 v16, 0, -1, vcc_lo
	v_cmp_le_u32_e32 vcc_lo, s24, v4
	;; [unrolled: 2-line block ×3, first 2 shown]
	v_cndmask_b32_e64 v17, 0, -1, vcc_lo
	v_cmp_eq_u32_e32 vcc_lo, s25, v12
	v_cndmask_b32_e64 v4, v17, v4, s0
	v_cndmask_b32_e32 v12, v16, v15, vcc_lo
	v_add_co_u32 v15, vcc_lo, v11, 1
	v_add_co_ci_u32_e32 v16, vcc_lo, 0, v6, vcc_lo
	v_cmp_ne_u32_e32 vcc_lo, 0, v12
	v_cndmask_b32_e32 v5, v16, v14, vcc_lo
	v_cndmask_b32_e32 v12, v15, v13, vcc_lo
	v_cmp_ne_u32_e32 vcc_lo, 0, v4
	v_cndmask_b32_e32 v6, v6, v5, vcc_lo
	v_cndmask_b32_e32 v5, v11, v12, vcc_lo
.LBB0_4:                                ;   in Loop: Header=BB0_2 Depth=1
	s_andn2_saveexec_b32 s0, s1
	s_cbranch_execz .LBB0_6
; %bb.5:                                ;   in Loop: Header=BB0_2 Depth=1
	v_cvt_f32_u32_e32 v4, s24
	s_sub_i32 s1, 0, s24
	v_rcp_iflag_f32_e32 v4, v4
	v_mul_f32_e32 v4, 0x4f7ffffe, v4
	v_cvt_u32_f32_e32 v4, v4
	v_mul_lo_u32 v5, s1, v4
	v_mul_hi_u32 v5, v4, v5
	v_add_nc_u32_e32 v4, v4, v5
	v_mul_hi_u32 v4, v9, v4
	v_mul_lo_u32 v5, v4, s24
	v_add_nc_u32_e32 v6, 1, v4
	v_sub_nc_u32_e32 v5, v9, v5
	v_subrev_nc_u32_e32 v11, s24, v5
	v_cmp_le_u32_e32 vcc_lo, s24, v5
	v_cndmask_b32_e32 v5, v5, v11, vcc_lo
	v_cndmask_b32_e32 v4, v4, v6, vcc_lo
	v_cmp_le_u32_e32 vcc_lo, s24, v5
	v_add_nc_u32_e32 v6, 1, v4
	v_cndmask_b32_e32 v5, v4, v6, vcc_lo
	v_mov_b32_e32 v6, v3
.LBB0_6:                                ;   in Loop: Header=BB0_2 Depth=1
	s_or_b32 exec_lo, exec_lo, s0
	v_mul_lo_u32 v4, v6, s24
	v_mul_lo_u32 v13, v5, s25
	s_load_dwordx2 s[0:1], s[6:7], 0x0
	v_mad_u64_u32 v[11:12], null, v5, s24, 0
	s_load_dwordx2 s[24:25], s[2:3], 0x0
	s_add_u32 s22, s22, 1
	s_addc_u32 s23, s23, 0
	s_add_u32 s2, s2, 8
	s_addc_u32 s3, s3, 0
	s_add_u32 s6, s6, 8
	v_add3_u32 v4, v12, v13, v4
	v_sub_co_u32 v9, vcc_lo, v9, v11
	s_addc_u32 s7, s7, 0
	s_add_u32 s20, s20, 8
	v_sub_co_ci_u32_e32 v4, vcc_lo, v10, v4, vcc_lo
	s_addc_u32 s21, s21, 0
	s_waitcnt lgkmcnt(0)
	v_mul_lo_u32 v10, s0, v4
	v_mul_lo_u32 v11, s1, v9
	v_mad_u64_u32 v[7:8], null, s0, v9, v[7:8]
	v_mul_lo_u32 v4, s24, v4
	v_mul_lo_u32 v12, s25, v9
	v_mad_u64_u32 v[1:2], null, s24, v9, v[1:2]
	v_cmp_ge_u64_e64 s0, s[22:23], s[14:15]
	v_add3_u32 v8, v11, v8, v10
	v_add3_u32 v2, v12, v2, v4
	s_and_b32 vcc_lo, exec_lo, s0
	s_cbranch_vccnz .LBB0_9
; %bb.7:                                ;   in Loop: Header=BB0_2 Depth=1
	v_mov_b32_e32 v10, v6
	v_mov_b32_e32 v9, v5
	s_branch .LBB0_2
.LBB0_8:
	v_mov_b32_e32 v1, v7
	v_mov_b32_e32 v5, v9
	;; [unrolled: 1-line block ×4, first 2 shown]
.LBB0_9:
	s_load_dwordx2 s[0:1], s[4:5], 0x28
	v_mul_hi_u32 v4, 0x5555556, v0
	s_lshl_b64 s[4:5], s[14:15], 3
                                        ; implicit-def: $vgpr3
	s_add_u32 s2, s18, s4
	s_addc_u32 s3, s19, s5
	s_waitcnt lgkmcnt(0)
	v_cmp_gt_u64_e32 vcc_lo, s[0:1], v[5:6]
	v_cmp_le_u64_e64 s0, s[0:1], v[5:6]
	s_and_saveexec_b32 s1, s0
	s_xor_b32 s0, exec_lo, s1
; %bb.10:
	v_mul_u32_u24_e32 v3, 48, v4
                                        ; implicit-def: $vgpr4
                                        ; implicit-def: $vgpr7_vgpr8
	v_sub_nc_u32_e32 v3, v0, v3
                                        ; implicit-def: $vgpr0
; %bb.11:
	s_or_saveexec_b32 s1, s0
	s_load_dwordx2 s[2:3], s[2:3], 0x0
	s_xor_b32 exec_lo, exec_lo, s1
	s_cbranch_execz .LBB0_15
; %bb.12:
	s_add_u32 s4, s16, s4
	s_addc_u32 s5, s17, s5
	v_lshlrev_b64 v[7:8], 2, v[7:8]
	s_load_dwordx2 s[4:5], s[4:5], 0x0
	s_waitcnt lgkmcnt(0)
	v_mul_lo_u32 v3, s5, v5
	v_mul_lo_u32 v11, s4, v6
	v_mad_u64_u32 v[9:10], null, s4, v5, 0
	s_mov_b32 s4, exec_lo
	v_add3_u32 v10, v10, v11, v3
	v_mul_u32_u24_e32 v3, 48, v4
	v_lshlrev_b64 v[9:10], 2, v[9:10]
	v_sub_nc_u32_e32 v3, v0, v3
	v_lshlrev_b32_e32 v13, 2, v3
	v_add_co_u32 v0, s0, s8, v9
	v_add_co_ci_u32_e64 v4, s0, s9, v10, s0
	v_or_b32_e32 v9, 0x900, v13
	v_add_co_u32 v0, s0, v0, v7
	v_add_co_ci_u32_e64 v4, s0, v4, v8, s0
	v_add_co_u32 v7, s0, v0, v13
	v_add_co_ci_u32_e64 v8, s0, 0, v4, s0
	;; [unrolled: 2-line block ×4, first 2 shown]
	s_clause 0xf
	global_load_dword v14, v[7:8], off
	global_load_dword v15, v[7:8], off offset:192
	global_load_dword v16, v[7:8], off offset:384
	;; [unrolled: 1-line block ×13, first 2 shown]
	global_load_dword v9, v[9:10], off
	global_load_dword v10, v[11:12], off offset:832
	v_add_nc_u32_e32 v11, 0, v13
	v_add_nc_u32_e32 v12, 0x400, v11
	v_add_nc_u32_e32 v13, 0x600, v11
	v_add_nc_u32_e32 v26, 0x800, v11
	s_waitcnt vmcnt(14)
	ds_write2_b32 v11, v14, v15 offset1:48
	s_waitcnt vmcnt(12)
	ds_write2_b32 v11, v16, v17 offset0:96 offset1:144
	s_waitcnt vmcnt(10)
	ds_write2_b32 v11, v18, v19 offset0:192 offset1:240
	s_waitcnt vmcnt(8)
	ds_write2_b32 v12, v20, v21 offset0:32 offset1:80
	s_waitcnt vmcnt(6)
	ds_write2_b32 v12, v22, v23 offset0:128 offset1:176
	s_waitcnt vmcnt(4)
	ds_write2_b32 v13, v7, v8 offset0:96 offset1:144
	s_waitcnt vmcnt(1)
	ds_write2_b32 v26, v9, v24 offset0:64 offset1:112
	s_waitcnt vmcnt(0)
	ds_write2_b32 v26, v25, v10 offset0:160 offset1:208
	v_cmpx_eq_u32_e32 47, v3
	s_cbranch_execz .LBB0_14
; %bb.13:
	v_add_co_u32 v3, s0, 0x800, v0
	v_add_co_ci_u32_e64 v4, s0, 0, v4, s0
	global_load_dword v0, v[3:4], off offset:1024
	v_mov_b32_e32 v4, 0
	v_mov_b32_e32 v3, 47
	s_waitcnt vmcnt(0)
	ds_write_b32 v4, v0 offset:3072
.LBB0_14:
	s_or_b32 exec_lo, exec_lo, s4
.LBB0_15:
	s_or_b32 exec_lo, exec_lo, s1
	v_lshlrev_b32_e32 v4, 2, v3
	s_waitcnt lgkmcnt(0)
	s_barrier
	buffer_gl0_inv
	s_add_u32 s1, s12, 0xbc0
	v_add_nc_u32_e32 v0, 0, v4
	v_sub_nc_u32_e32 v9, 0, v4
	s_addc_u32 s4, s13, 0
	s_mov_b32 s5, exec_lo
                                        ; implicit-def: $vgpr7_vgpr8
	ds_read_u16 v12, v0
	ds_read_u16 v13, v9 offset:3072
	s_waitcnt lgkmcnt(0)
	v_add_f16_e32 v11, v13, v12
	v_sub_f16_e32 v10, v12, v13
	v_cmpx_ne_u32_e32 0, v3
	s_xor_b32 s5, exec_lo, s5
	s_cbranch_execz .LBB0_17
; %bb.16:
	v_mov_b32_e32 v4, 0
	v_add_f16_e32 v11, v13, v12
	v_sub_f16_e32 v12, v12, v13
	v_lshlrev_b64 v[7:8], 2, v[3:4]
	v_add_co_u32 v7, s0, s1, v7
	v_add_co_ci_u32_e64 v8, s0, s4, v8, s0
	global_load_dword v7, v[7:8], off
	ds_read_u16 v8, v9 offset:3074
	ds_read_u16 v10, v0 offset:2
	s_waitcnt lgkmcnt(0)
	v_add_f16_e32 v13, v8, v10
	v_sub_f16_e32 v8, v10, v8
	s_waitcnt vmcnt(0)
	v_lshrrev_b32_e32 v14, 16, v7
	v_fma_f16 v15, -v12, v14, v11
	v_fma_f16 v16, v13, v14, -v8
	v_fma_f16 v10, v13, v14, v8
	v_fma_f16 v11, v12, v14, v11
	v_fmac_f16_e32 v15, v7, v13
	v_fmac_f16_e32 v16, v12, v7
	;; [unrolled: 1-line block ×3, first 2 shown]
	v_fma_f16 v11, -v7, v13, v11
	v_mov_b32_e32 v8, v4
	v_mov_b32_e32 v7, v3
	v_pack_b32_f16 v12, v15, v16
	ds_write_b32 v9, v12 offset:3072
.LBB0_17:
	s_andn2_saveexec_b32 s0, s5
	s_cbranch_execz .LBB0_19
; %bb.18:
	v_mov_b32_e32 v4, 0
	ds_read_b32 v7, v4 offset:1536
	s_waitcnt lgkmcnt(0)
	v_pk_mul_f16 v12, 0xc0004000, v7
	v_mov_b32_e32 v7, 0
	v_mov_b32_e32 v8, 0
	ds_write_b32 v4, v12 offset:1536
.LBB0_19:
	s_or_b32 exec_lo, exec_lo, s0
	v_lshlrev_b64 v[7:8], 2, v[7:8]
	v_add_nc_u32_e32 v24, 0x400, v0
	v_add_nc_u32_e32 v25, 0x800, v0
	v_add_co_u32 v7, s0, s1, v7
	v_add_co_ci_u32_e64 v8, s0, s4, v8, s0
	v_cmp_gt_u32_e64 s0, 16, v3
	s_clause 0x6
	global_load_dword v4, v[7:8], off offset:192
	global_load_dword v12, v[7:8], off offset:384
	;; [unrolled: 1-line block ×7, first 2 shown]
	v_perm_b32 v8, v10, v11, 0x5040100
	ds_write_b32 v0, v8
	ds_read_b32 v8, v0 offset:192
	ds_read_b32 v10, v9 offset:2880
	s_waitcnt lgkmcnt(0)
	v_add_f16_e32 v11, v8, v10
	v_add_f16_sdwa v17, v10, v8 dst_sel:DWORD dst_unused:UNUSED_PAD src0_sel:WORD_1 src1_sel:WORD_1
	v_sub_f16_e32 v18, v8, v10
	v_sub_f16_sdwa v8, v8, v10 dst_sel:DWORD dst_unused:UNUSED_PAD src0_sel:WORD_1 src1_sel:WORD_1
	s_waitcnt vmcnt(6)
	v_lshrrev_b32_e32 v19, 16, v4
	v_fma_f16 v10, v18, v19, v11
	v_fma_f16 v20, v17, v19, v8
	v_fma_f16 v11, -v18, v19, v11
	v_fma_f16 v8, v17, v19, -v8
	v_fma_f16 v10, -v4, v17, v10
	v_fmac_f16_e32 v20, v18, v4
	v_fmac_f16_e32 v11, v4, v17
	v_fmac_f16_e32 v8, v18, v4
	v_pack_b32_f16 v4, v10, v20
	s_waitcnt vmcnt(5)
	v_lshrrev_b32_e32 v10, 16, v12
	v_pack_b32_f16 v8, v11, v8
	v_add_nc_u32_e32 v20, 0x600, v0
	ds_write_b32 v0, v4 offset:192
	ds_write_b32 v9, v8 offset:2880
	ds_read_b32 v4, v0 offset:384
	ds_read_b32 v8, v9 offset:2688
	s_waitcnt lgkmcnt(0)
	v_add_f16_e32 v11, v4, v8
	v_add_f16_sdwa v17, v8, v4 dst_sel:DWORD dst_unused:UNUSED_PAD src0_sel:WORD_1 src1_sel:WORD_1
	v_sub_f16_e32 v18, v4, v8
	v_sub_f16_sdwa v4, v4, v8 dst_sel:DWORD dst_unused:UNUSED_PAD src0_sel:WORD_1 src1_sel:WORD_1
	v_fma_f16 v8, v18, v10, v11
	v_fma_f16 v19, v17, v10, v4
	v_fma_f16 v11, -v18, v10, v11
	v_fma_f16 v4, v17, v10, -v4
	s_waitcnt vmcnt(4)
	v_lshrrev_b32_e32 v10, 16, v13
	v_fma_f16 v8, -v12, v17, v8
	v_fmac_f16_e32 v19, v18, v12
	v_fmac_f16_e32 v11, v12, v17
	v_fmac_f16_e32 v4, v18, v12
	v_pack_b32_f16 v8, v8, v19
	v_pack_b32_f16 v4, v11, v4
	ds_write_b32 v0, v8 offset:384
	ds_write_b32 v9, v4 offset:2688
	ds_read_b32 v4, v0 offset:576
	ds_read_b32 v8, v9 offset:2496
	s_waitcnt lgkmcnt(0)
	v_add_f16_e32 v11, v4, v8
	v_add_f16_sdwa v12, v8, v4 dst_sel:DWORD dst_unused:UNUSED_PAD src0_sel:WORD_1 src1_sel:WORD_1
	v_sub_f16_e32 v17, v4, v8
	v_sub_f16_sdwa v4, v4, v8 dst_sel:DWORD dst_unused:UNUSED_PAD src0_sel:WORD_1 src1_sel:WORD_1
	v_fma_f16 v8, v17, v10, v11
	v_fma_f16 v18, v12, v10, v4
	v_fma_f16 v11, -v17, v10, v11
	v_fma_f16 v4, v12, v10, -v4
	s_waitcnt vmcnt(3)
	v_lshrrev_b32_e32 v10, 16, v14
	v_fma_f16 v8, -v13, v12, v8
	v_fmac_f16_e32 v18, v17, v13
	v_fmac_f16_e32 v11, v13, v12
	v_fmac_f16_e32 v4, v17, v13
	v_pack_b32_f16 v8, v8, v18
	v_pack_b32_f16 v4, v11, v4
	;; [unrolled: 21-line block ×5, first 2 shown]
	ds_write_b32 v0, v8 offset:1152
	ds_write_b32 v9, v4 offset:1920
	ds_read_b32 v4, v0 offset:1344
	ds_read_b32 v8, v9 offset:1728
	s_waitcnt lgkmcnt(0)
	v_add_f16_e32 v11, v4, v8
	v_add_f16_sdwa v12, v8, v4 dst_sel:DWORD dst_unused:UNUSED_PAD src0_sel:WORD_1 src1_sel:WORD_1
	v_sub_f16_e32 v13, v4, v8
	v_sub_f16_sdwa v4, v4, v8 dst_sel:DWORD dst_unused:UNUSED_PAD src0_sel:WORD_1 src1_sel:WORD_1
	v_fma_f16 v8, v13, v10, v11
	v_fma_f16 v14, v12, v10, v4
	v_fma_f16 v11, -v13, v10, v11
	v_fma_f16 v4, v12, v10, -v4
	v_fma_f16 v8, -v7, v12, v8
	v_fmac_f16_e32 v14, v13, v7
	v_fmac_f16_e32 v11, v7, v12
	;; [unrolled: 1-line block ×3, first 2 shown]
	v_pack_b32_f16 v7, v8, v14
	v_pack_b32_f16 v4, v11, v4
	ds_write_b32 v0, v7 offset:1344
	ds_write_b32 v9, v4 offset:1728
	s_waitcnt lgkmcnt(0)
	s_barrier
	buffer_gl0_inv
	s_barrier
	buffer_gl0_inv
	ds_read2_b32 v[8:9], v0 offset1:48
	ds_read2_b32 v[10:11], v0 offset0:96 offset1:144
	ds_read2_b32 v[12:13], v0 offset0:192 offset1:240
	;; [unrolled: 1-line block ×7, first 2 shown]
	v_mad_u32_u24 v7, v3, 60, v0
	s_waitcnt lgkmcnt(0)
	s_barrier
	buffer_gl0_inv
	v_pk_add_f16 v4, v8, v16 neg_lo:[0,1] neg_hi:[0,1]
	v_pk_add_f16 v16, v12, v18 neg_lo:[0,1] neg_hi:[0,1]
	;; [unrolled: 1-line block ×8, first 2 shown]
	v_pk_fma_f16 v10, v10, 2.0, v18 op_sel_hi:[1,0,1] neg_lo:[0,0,1] neg_hi:[0,0,1]
	v_pk_fma_f16 v14, v14, 2.0, v20 op_sel_hi:[1,0,1] neg_lo:[0,0,1] neg_hi:[0,0,1]
	v_sub_f16_sdwa v23, v4, v16 dst_sel:DWORD dst_unused:UNUSED_PAD src0_sel:DWORD src1_sel:WORD_1
	v_lshrrev_b32_e32 v26, 16, v4
	v_lshrrev_b32_e32 v28, 16, v18
	;; [unrolled: 1-line block ×4, first 2 shown]
	v_pk_fma_f16 v8, v8, 2.0, v4 op_sel_hi:[1,0,1] neg_lo:[0,0,1] neg_hi:[0,0,1]
	v_pk_fma_f16 v12, v12, 2.0, v16 op_sel_hi:[1,0,1] neg_lo:[0,0,1] neg_hi:[0,0,1]
	;; [unrolled: 1-line block ×6, first 2 shown]
	v_sub_f16_sdwa v27, v18, v20 dst_sel:DWORD dst_unused:UNUSED_PAD src0_sel:DWORD src1_sel:WORD_1
	v_sub_f16_sdwa v29, v17, v19 dst_sel:DWORD dst_unused:UNUSED_PAD src0_sel:DWORD src1_sel:WORD_1
	v_sub_f16_sdwa v31, v21, v22 dst_sel:DWORD dst_unused:UNUSED_PAD src0_sel:DWORD src1_sel:WORD_1
	v_add_f16_e32 v16, v26, v16
	v_fma_f16 v33, v4, 2.0, -v23
	v_pk_add_f16 v4, v10, v14 neg_lo:[0,1] neg_hi:[0,1]
	v_add_f16_e32 v14, v28, v20
	v_add_f16_e32 v19, v30, v19
	;; [unrolled: 1-line block ×3, first 2 shown]
	v_pk_add_f16 v12, v8, v12 neg_lo:[0,1] neg_hi:[0,1]
	v_fma_f16 v18, v18, 2.0, -v27
	v_pk_add_f16 v13, v9, v13 neg_lo:[0,1] neg_hi:[0,1]
	v_fma_f16 v17, v17, 2.0, -v29
	;; [unrolled: 2-line block ×3, first 2 shown]
	v_fmamk_f16 v22, v27, 0x39a8, v23
	v_fmamk_f16 v34, v31, 0x39a8, v29
	v_fma_f16 v26, v26, 2.0, -v16
	v_fma_f16 v28, v28, 2.0, -v14
	v_fma_f16 v30, v30, 2.0, -v19
	v_fma_f16 v32, v32, 2.0, -v20
	v_fmamk_f16 v35, v18, 0xb9a8, v33
	v_sub_f16_sdwa v36, v12, v4 dst_sel:DWORD dst_unused:UNUSED_PAD src0_sel:DWORD src1_sel:WORD_1
	v_lshrrev_b32_e32 v37, 16, v12
	v_fmamk_f16 v38, v14, 0x39a8, v16
	v_fmac_f16_e32 v22, 0xb9a8, v14
	v_fmamk_f16 v14, v21, 0xb9a8, v17
	v_sub_f16_sdwa v39, v13, v15 dst_sel:DWORD dst_unused:UNUSED_PAD src0_sel:DWORD src1_sel:WORD_1
	v_lshrrev_b32_e32 v40, 16, v13
	v_fmamk_f16 v41, v20, 0x39a8, v19
	v_fmac_f16_e32 v34, 0xb9a8, v20
	v_fmamk_f16 v20, v28, 0xb9a8, v26
	v_fmamk_f16 v42, v32, 0xb9a8, v30
	v_pk_fma_f16 v8, v8, 2.0, v12 op_sel_hi:[1,0,1] neg_lo:[0,0,1] neg_hi:[0,0,1]
	v_pk_fma_f16 v10, v10, 2.0, v4 op_sel_hi:[1,0,1] neg_lo:[0,0,1] neg_hi:[0,0,1]
	;; [unrolled: 1-line block ×4, first 2 shown]
	v_fmac_f16_e32 v35, 0xb9a8, v28
	v_add_f16_e32 v28, v37, v4
	v_fma_f16 v12, v12, 2.0, -v36
	v_fmac_f16_e32 v38, 0x39a8, v27
	v_fmac_f16_e32 v14, 0xb9a8, v32
	v_add_f16_e32 v15, v40, v15
	v_fma_f16 v13, v13, 2.0, -v39
	v_fmac_f16_e32 v41, 0x39a8, v31
	v_fma_f16 v27, v23, 2.0, -v22
	v_fma_f16 v29, v29, 2.0, -v34
	v_fmamk_f16 v31, v39, 0x39a8, v36
	v_fmac_f16_e32 v20, 0x39a8, v18
	v_fmac_f16_e32 v42, 0x39a8, v21
	v_pk_add_f16 v10, v8, v10 neg_lo:[0,1] neg_hi:[0,1]
	v_fmamk_f16 v4, v34, 0x3b64, v22
	v_fma_f16 v18, v33, 2.0, -v35
	v_fma_f16 v32, v37, 2.0, -v28
	;; [unrolled: 1-line block ×6, first 2 shown]
	v_fmamk_f16 v33, v13, 0xb9a8, v12
	v_fmamk_f16 v37, v29, 0xb61f, v27
	;; [unrolled: 1-line block ×3, first 2 shown]
	v_fmac_f16_e32 v31, 0xb9a8, v15
	v_fmamk_f16 v23, v41, 0x3b64, v38
	v_fma_f16 v15, v26, 2.0, -v20
	v_fma_f16 v26, v30, 2.0, -v42
	v_pk_add_f16 v11, v9, v11 neg_lo:[0,1] neg_hi:[0,1]
	v_lshrrev_b32_e32 v43, 16, v10
	v_fmac_f16_e32 v4, 0xb61f, v41
	v_fmamk_f16 v30, v17, 0xbb64, v18
	v_fmamk_f16 v41, v21, 0xb9a8, v32
	v_fmac_f16_e32 v33, 0xb9a8, v21
	v_fmamk_f16 v21, v19, 0xb61f, v16
	v_fmamk_f16 v44, v14, 0x361f, v35
	v_fmac_f16_e32 v37, 0xbb64, v19
	v_fmamk_f16 v19, v42, 0x361f, v20
	v_fmac_f16_e32 v23, 0x361f, v34
	v_fmamk_f16 v34, v26, 0xbb64, v15
	v_pk_fma_f16 v9, v9, 2.0, v11 op_sel_hi:[1,0,1] neg_lo:[0,0,1] neg_hi:[0,0,1]
	v_sub_f16_sdwa v40, v10, v11 dst_sel:DWORD dst_unused:UNUSED_PAD src0_sel:DWORD src1_sel:WORD_1
	v_add_f16_e32 v11, v43, v11
	v_fmac_f16_e32 v45, 0x39a8, v39
	v_fmac_f16_e32 v30, 0xb61f, v26
	;; [unrolled: 1-line block ×6, first 2 shown]
	v_pk_fma_f16 v8, v8, 2.0, v10 op_sel_hi:[1,0,1] neg_lo:[0,0,1] neg_hi:[0,0,1]
	v_fmac_f16_e32 v34, 0x361f, v17
	v_fma_f16 v10, v10, 2.0, -v40
	v_fma_f16 v36, v36, 2.0, -v31
	;; [unrolled: 1-line block ×13, first 2 shown]
	v_pk_add_f16 v9, v8, v9 neg_lo:[0,1] neg_hi:[0,1]
	v_fma_f16 v15, v15, 2.0, -v34
	v_pack_b32_f16 v11, v40, v11
	v_pack_b32_f16 v29, v4, v23
	;; [unrolled: 1-line block ×13, first 2 shown]
	v_pk_fma_f16 v8, v8, 2.0, v9 op_sel_hi:[1,0,1] neg_lo:[0,0,1] neg_hi:[0,0,1]
	v_pack_b32_f16 v15, v17, v15
	ds_write2_b32 v7, v31, v29 offset0:14 offset1:15
	ds_write2_b32 v7, v26, v22 offset0:6 offset1:7
	;; [unrolled: 1-line block ×7, first 2 shown]
	ds_write2_b32 v7, v8, v15 offset1:1
	s_waitcnt lgkmcnt(0)
	s_barrier
	buffer_gl0_inv
	ds_read2_b32 v[9:10], v0 offset1:48
	ds_read2_b32 v[21:22], v25 offset1:48
	ds_read2_b32 v[19:20], v24 offset0:48 offset1:96
	ds_read2_b32 v[11:12], v0 offset0:96 offset1:144
	;; [unrolled: 1-line block ×4, first 2 shown]
	ds_read2st64_b32 v[13:14], v0 offset0:3 offset1:4
	ds_read_b32 v30, v0 offset:2816
                                        ; implicit-def: $vgpr24
                                        ; implicit-def: $vgpr8
                                        ; implicit-def: $vgpr25
	s_and_saveexec_b32 s1, s0
	s_cbranch_execz .LBB0_21
; %bb.20:
	v_mad_i32_i24 v4, 0xffffffc4, v3, v7
	v_add_nc_u32_e32 v7, 0xc0, v4
	ds_read_b32 v4, v0 offset:960
	ds_read2st64_b32 v[7:8], v7 offset0:7 offset1:11
	s_waitcnt lgkmcnt(1)
	v_lshrrev_b32_e32 v23, 16, v4
	s_waitcnt lgkmcnt(0)
	v_lshrrev_b32_e32 v25, 16, v7
	v_lshrrev_b32_e32 v24, 16, v8
.LBB0_21:
	s_or_b32 exec_lo, exec_lo, s1
	v_lshlrev_b32_e32 v26, 3, v3
	v_and_b32_e32 v31, 15, v3
	v_add_nc_u32_e32 v33, 48, v3
	v_add_nc_u32_e32 v34, 0x60, v3
	;; [unrolled: 1-line block ×3, first 2 shown]
	v_and_b32_e32 v29, 0x78, v26
	v_lshlrev_b32_e32 v32, 3, v31
	v_or_b32_e32 v36, 0xc0, v3
	v_lshrrev_b32_e32 v48, 4, v3
	v_lshrrev_b32_e32 v33, 4, v33
	s_clause 0x3
	global_load_dword v26, v29, s[12:13]
	global_load_dword v28, v29, s[12:13] offset:2
	global_load_dword v27, v29, s[12:13] offset:4
	global_load_ushort v32, v32, s[12:13]
	v_lshrrev_b32_e32 v34, 4, v34
	v_mul_u32_u24_e32 v48, 48, v48
	v_lshrrev_b32_e32 v35, 4, v35
	v_lshrrev_b32_e32 v36, 4, v36
	s_waitcnt lgkmcnt(1)
	v_lshrrev_b32_e32 v42, 16, v14
	v_lshrrev_b32_e32 v43, 16, v21
	;; [unrolled: 1-line block ×4, first 2 shown]
	v_mul_u32_u24_e32 v33, 48, v33
	v_mul_u32_u24_e32 v34, 48, v34
	;; [unrolled: 1-line block ×4, first 2 shown]
	v_or_b32_e32 v48, v48, v31
	v_lshrrev_b32_e32 v46, 16, v20
	v_lshrrev_b32_e32 v47, 16, v15
	;; [unrolled: 1-line block ×5, first 2 shown]
	s_waitcnt lgkmcnt(0)
	v_lshrrev_b32_e32 v52, 16, v30
	v_or_b32_e32 v33, v33, v31
	v_or_b32_e32 v34, v34, v31
	v_or_b32_e32 v35, v35, v31
	v_or_b32_e32 v31, v36, v31
	v_lshl_add_u32 v36, v48, 2, 0
	v_lshrrev_b32_e32 v37, 16, v9
	v_lshrrev_b32_e32 v38, 16, v10
	;; [unrolled: 1-line block ×5, first 2 shown]
	v_lshl_add_u32 v33, v33, 2, 0
	v_lshl_add_u32 v34, v34, 2, 0
	s_waitcnt vmcnt(0)
	s_barrier
	buffer_gl0_inv
	v_lshl_add_u32 v35, v35, 2, 0
	v_lshl_add_u32 v31, v31, 2, 0
	v_mul_f16_sdwa v48, v26, v42 dst_sel:DWORD dst_unused:UNUSED_PAD src0_sel:WORD_1 src1_sel:DWORD
	v_mul_f16_sdwa v53, v26, v14 dst_sel:DWORD dst_unused:UNUSED_PAD src0_sel:WORD_1 src1_sel:DWORD
	v_lshrrev_b32_e32 v54, 16, v28
	v_mul_f16_sdwa v55, v27, v43 dst_sel:DWORD dst_unused:UNUSED_PAD src0_sel:WORD_1 src1_sel:DWORD
	v_mul_f16_sdwa v56, v27, v21 dst_sel:DWORD dst_unused:UNUSED_PAD src0_sel:WORD_1 src1_sel:DWORD
	;; [unrolled: 1-line block ×15, first 2 shown]
	v_fma_f16 v21, v54, v21, -v55
	v_fma_f16 v22, v54, v22, -v59
	v_mul_f16_sdwa v55, v26, v18 dst_sel:DWORD dst_unused:UNUSED_PAD src0_sel:WORD_1 src1_sel:DWORD
	v_mul_f16_sdwa v59, v27, v52 dst_sel:DWORD dst_unused:UNUSED_PAD src0_sel:WORD_1 src1_sel:DWORD
	v_fma_f16 v19, v32, v19, -v57
	v_mul_f16_sdwa v57, v27, v30 dst_sel:DWORD dst_unused:UNUSED_PAD src0_sel:WORD_1 src1_sel:DWORD
	v_fmac_f16_e32 v53, v32, v42
	v_fmac_f16_e32 v56, v54, v43
	v_fma_f16 v14, v32, v14, -v48
	v_fmac_f16_e32 v58, v32, v44
	v_fmac_f16_e32 v60, v54, v45
	v_fma_f16 v20, v32, v20, -v61
	;; [unrolled: 3-line block ×3, first 2 shown]
	v_fma_f16 v17, v32, v17, -v65
	v_fmac_f16_e32 v66, v32, v49
	v_fma_f16 v16, v54, v16, -v67
	v_fmac_f16_e32 v68, v54, v50
	;; [unrolled: 2-line block ×4, first 2 shown]
	v_add_f16_e32 v32, v9, v14
	v_add_f16_e32 v42, v14, v21
	;; [unrolled: 1-line block ×6, first 2 shown]
	v_sub_f16_e32 v48, v58, v60
	v_add_f16_e32 v49, v38, v58
	v_add_f16_e32 v52, v20, v15
	;; [unrolled: 1-line block ×3, first 2 shown]
	v_sub_f16_e32 v43, v53, v56
	v_sub_f16_e32 v14, v14, v21
	v_add_f16_e32 v46, v10, v19
	v_sub_f16_e32 v53, v62, v64
	v_add_f16_e32 v54, v39, v62
	v_add_f16_e32 v61, v17, v16
	v_sub_f16_e32 v62, v66, v68
	v_add_f16_e32 v63, v40, v66
	v_add_f16_e32 v65, v66, v68
	;; [unrolled: 1-line block ×5, first 2 shown]
	v_sub_f16_e32 v32, v55, v57
	v_add_f16_e32 v44, v44, v56
	v_add_f16_e32 v56, v41, v55
	;; [unrolled: 1-line block ×3, first 2 shown]
	v_fmac_f16_e32 v37, -0.5, v45
	v_fma_f16 v9, -0.5, v42, v9
	v_sub_f16_e32 v19, v19, v22
	v_fmac_f16_e32 v10, -0.5, v47
	v_fmac_f16_e32 v38, -0.5, v50
	v_add_f16_e32 v51, v11, v20
	v_sub_f16_e32 v20, v20, v15
	v_fma_f16 v11, -0.5, v52, v11
	v_fmac_f16_e32 v39, -0.5, v58
	v_add_f16_e32 v59, v12, v17
	v_sub_f16_e32 v17, v17, v16
	v_sub_f16_e32 v18, v18, v30
	v_add_f16_e32 v22, v46, v22
	v_add_f16_e32 v45, v49, v60
	v_fmac_f16_e32 v12, -0.5, v61
	v_fmac_f16_e32 v40, -0.5, v65
	v_add_f16_e32 v30, v66, v30
	v_fmac_f16_e32 v13, -0.5, v67
	v_add_f16_e32 v47, v56, v57
	v_fmac_f16_e32 v41, -0.5, v55
	v_fmamk_f16 v49, v43, 0x3aee, v9
	v_fmac_f16_e32 v9, 0xbaee, v43
	v_fmamk_f16 v43, v14, 0xbaee, v37
	v_fmac_f16_e32 v37, 0x3aee, v14
	;; [unrolled: 2-line block ×4, first 2 shown]
	v_add_f16_e32 v15, v51, v15
	v_add_f16_e32 v46, v54, v64
	v_fmamk_f16 v19, v53, 0x3aee, v11
	v_fmamk_f16 v50, v20, 0xbaee, v39
	v_add_f16_e32 v16, v59, v16
	v_add_f16_e32 v42, v63, v68
	v_fmac_f16_e32 v11, 0xbaee, v53
	v_fmac_f16_e32 v39, 0x3aee, v20
	v_fmamk_f16 v20, v62, 0x3aee, v12
	v_fmac_f16_e32 v12, 0xbaee, v62
	v_fmamk_f16 v51, v17, 0xbaee, v40
	;; [unrolled: 2-line block ×4, first 2 shown]
	v_fmac_f16_e32 v41, 0x3aee, v18
	v_pack_b32_f16 v18, v21, v44
	v_pack_b32_f16 v21, v22, v45
	;; [unrolled: 1-line block ×15, first 2 shown]
	ds_write2_b32 v36, v18, v30 offset1:16
	ds_write_b32 v36, v9 offset:128
	ds_write2_b32 v33, v21, v14 offset1:16
	ds_write_b32 v33, v10 offset:128
	;; [unrolled: 2-line block ×5, first 2 shown]
	s_and_saveexec_b32 s1, s0
	s_cbranch_execz .LBB0_23
; %bb.22:
	v_add_co_u32 v9, s0, s12, v29
	v_add_co_ci_u32_e64 v10, null, s13, 0, s0
	v_mul_f16_e32 v12, v25, v28
	v_add_co_u32 v9, s0, v9, 4
	v_add_co_ci_u32_e64 v10, s0, 0, v10, s0
	global_load_ushort v9, v[9:10], off offset:2
	v_mul_f16_e32 v10, v7, v28
	v_fma_f16 v7, v7, v26, -v12
	v_fmac_f16_e32 v10, v25, v26
	v_add_f16_e32 v14, v4, v7
	v_add_f16_e32 v12, v23, v10
	s_waitcnt vmcnt(0)
	v_mul_f16_e32 v11, v8, v9
	v_mul_f16_e32 v9, v24, v9
	v_fmac_f16_e32 v11, v24, v27
	v_fma_f16 v8, v8, v27, -v9
	v_add_f16_e32 v9, v10, v11
	v_add_f16_e32 v13, v7, v8
	v_sub_f16_e32 v7, v7, v8
	v_add_f16_e32 v8, v14, v8
	v_fmac_f16_e32 v23, -0.5, v9
	v_sub_f16_e32 v9, v10, v11
	v_fmac_f16_e32 v4, -0.5, v13
	v_add_f16_e32 v10, v12, v11
	v_fmamk_f16 v11, v7, 0x3aee, v23
	v_fmac_f16_e32 v23, 0xbaee, v7
	v_fmamk_f16 v7, v9, 0xbaee, v4
	v_fmac_f16_e32 v4, 0x3aee, v9
	v_add_nc_u32_e32 v9, 0x800, v0
	v_pack_b32_f16 v8, v8, v10
	v_pack_b32_f16 v7, v7, v11
	;; [unrolled: 1-line block ×3, first 2 shown]
	ds_write2_b32 v9, v8, v4 offset0:208 offset1:224
	ds_write_b32 v0, v7 offset:3008
.LBB0_23:
	s_or_b32 exec_lo, exec_lo, s1
	v_mul_u32_u24_e32 v4, 15, v3
	s_waitcnt lgkmcnt(0)
	s_barrier
	buffer_gl0_inv
	v_add_nc_u32_e32 v7, 0x600, v0
	v_lshlrev_b32_e32 v4, 2, v4
	v_add_nc_u32_e32 v8, 0x800, v0
	s_clause 0x3
	global_load_dwordx4 v[9:12], v4, s[12:13] offset:128
	global_load_dwordx4 v[13:16], v4, s[12:13] offset:144
	;; [unrolled: 1-line block ×3, first 2 shown]
	global_load_dwordx3 v[21:23], v4, s[12:13] offset:176
	ds_read2_b32 v[24:25], v0 offset1:48
	ds_read2_b32 v[26:27], v0 offset0:192 offset1:240
	v_add_nc_u32_e32 v4, 0x400, v0
	ds_read2_b32 v[28:29], v0 offset0:96 offset1:144
	ds_read2_b32 v[30:31], v4 offset0:32 offset1:80
	;; [unrolled: 1-line block ×6, first 2 shown]
	s_waitcnt vmcnt(0) lgkmcnt(0)
	s_barrier
	buffer_gl0_inv
	v_lshrrev_b32_e32 v41, 16, v25
	v_lshrrev_b32_e32 v40, 16, v27
	;; [unrolled: 1-line block ×16, first 2 shown]
	v_mul_f16_sdwa v56, v10, v42 dst_sel:DWORD dst_unused:UNUSED_PAD src0_sel:WORD_1 src1_sel:DWORD
	v_mul_f16_sdwa v57, v11, v43 dst_sel:DWORD dst_unused:UNUSED_PAD src0_sel:WORD_1 src1_sel:DWORD
	;; [unrolled: 1-line block ×8, first 2 shown]
	v_mul_f16_sdwa v64, v40, v13 dst_sel:DWORD dst_unused:UNUSED_PAD src0_sel:DWORD src1_sel:WORD_1
	v_mul_f16_sdwa v65, v46, v14 dst_sel:DWORD dst_unused:UNUSED_PAD src0_sel:DWORD src1_sel:WORD_1
	;; [unrolled: 1-line block ×15, first 2 shown]
	v_fma_f16 v28, v10, v28, -v56
	v_fma_f16 v29, v11, v29, -v57
	v_mul_f16_sdwa v56, v36, v20 dst_sel:DWORD dst_unused:UNUSED_PAD src0_sel:DWORD src1_sel:WORD_1
	v_mul_f16_sdwa v57, v53, v21 dst_sel:DWORD dst_unused:UNUSED_PAD src0_sel:DWORD src1_sel:WORD_1
	v_fmac_f16_e32 v58, v9, v41
	v_mul_f16_sdwa v41, v37, v21 dst_sel:DWORD dst_unused:UNUSED_PAD src0_sel:DWORD src1_sel:WORD_1
	v_fmac_f16_e32 v59, v10, v42
	;; [unrolled: 2-line block ×3, first 2 shown]
	v_mul_f16_sdwa v11, v38, v22 dst_sel:DWORD dst_unused:UNUSED_PAD src0_sel:DWORD src1_sel:WORD_1
	v_mul_f16_sdwa v42, v55, v23 dst_sel:DWORD dst_unused:UNUSED_PAD src0_sel:DWORD src1_sel:WORD_1
	v_fma_f16 v9, v9, v25, -v61
	v_mul_f16_sdwa v25, v39, v23 dst_sel:DWORD dst_unused:UNUSED_PAD src0_sel:DWORD src1_sel:WORD_1
	v_fmac_f16_e32 v62, v12, v44
	v_fma_f16 v12, v12, v26, -v63
	v_fma_f16 v26, v27, v13, -v64
	;; [unrolled: 1-line block ×4, first 2 shown]
	v_fmac_f16_e32 v67, v40, v13
	v_fmac_f16_e32 v68, v46, v14
	;; [unrolled: 1-line block ×4, first 2 shown]
	v_fma_f16 v13, v32, v16, -v71
	v_fma_f16 v14, v33, v17, -v72
	;; [unrolled: 1-line block ×4, first 2 shown]
	v_fmac_f16_e32 v73, v49, v17
	v_fmac_f16_e32 v75, v50, v18
	;; [unrolled: 1-line block ×4, first 2 shown]
	v_fma_f16 v17, v36, v20, -v78
	v_fma_f16 v18, v37, v21, -v57
	v_fmac_f16_e32 v41, v53, v21
	v_fma_f16 v10, v38, v22, -v10
	v_fmac_f16_e32 v11, v54, v22
	;; [unrolled: 2-line block ×3, first 2 shown]
	v_sub_f16_e32 v13, v24, v13
	v_sub_f16_e32 v20, v45, v70
	;; [unrolled: 1-line block ×16, first 2 shown]
	v_fma_f16 v24, v24, 2.0, -v13
	v_fma_f16 v33, v45, 2.0, -v20
	;; [unrolled: 1-line block ×14, first 2 shown]
	v_sub_f16_e32 v21, v13, v21
	v_add_f16_e32 v17, v20, v17
	v_sub_f16_e32 v11, v15, v11
	v_add_f16_e32 v10, v22, v10
	;; [unrolled: 2-line block ×4, first 2 shown]
	v_fma_f16 v9, v9, 2.0, -v14
	v_fma_f16 v29, v29, 2.0, -v16
	v_sub_f16_e32 v12, v24, v12
	v_sub_f16_e32 v34, v33, v34
	v_fma_f16 v13, v13, 2.0, -v21
	v_fma_f16 v20, v20, 2.0, -v17
	v_sub_f16_e32 v27, v28, v27
	v_sub_f16_e32 v36, v35, v36
	v_fma_f16 v15, v15, 2.0, -v11
	v_fma_f16 v22, v22, 2.0, -v10
	v_sub_f16_e32 v38, v37, v38
	v_fma_f16 v14, v14, 2.0, -v31
	v_fma_f16 v23, v23, 2.0, -v18
	;; [unrolled: 3-line block ×3, first 2 shown]
	v_fmamk_f16 v41, v11, 0x39a8, v21
	v_fmamk_f16 v42, v10, 0x39a8, v17
	v_sub_f16_e32 v26, v9, v26
	v_sub_f16_e32 v30, v29, v30
	v_fmamk_f16 v43, v25, 0x39a8, v31
	v_fmamk_f16 v44, v19, 0x39a8, v18
	v_fma_f16 v24, v24, 2.0, -v12
	v_fma_f16 v33, v33, 2.0, -v34
	;; [unrolled: 1-line block ×6, first 2 shown]
	v_fmamk_f16 v45, v15, 0xb9a8, v13
	v_fmamk_f16 v46, v22, 0xb9a8, v20
	v_fmac_f16_e32 v41, 0xb9a8, v10
	v_fmac_f16_e32 v42, 0x39a8, v11
	v_fmamk_f16 v10, v16, 0xb9a8, v14
	v_fmamk_f16 v11, v32, 0xb9a8, v23
	v_fma_f16 v9, v9, 2.0, -v26
	v_fma_f16 v29, v29, 2.0, -v30
	v_sub_f16_e32 v36, v12, v36
	v_add_f16_e32 v27, v34, v27
	v_sub_f16_e32 v40, v26, v40
	v_add_f16_e32 v30, v38, v30
	v_fmac_f16_e32 v43, 0xb9a8, v19
	v_fmac_f16_e32 v44, 0x39a8, v25
	v_sub_f16_e32 v19, v24, v28
	v_sub_f16_e32 v25, v33, v35
	v_fmac_f16_e32 v45, 0xb9a8, v22
	v_fmac_f16_e32 v46, 0x39a8, v15
	v_sub_f16_e32 v28, v37, v39
	v_fmac_f16_e32 v10, 0xb9a8, v32
	v_fmac_f16_e32 v11, 0x39a8, v16
	v_fma_f16 v12, v12, 2.0, -v36
	v_fma_f16 v15, v34, 2.0, -v27
	;; [unrolled: 1-line block ×4, first 2 shown]
	v_sub_f16_e32 v22, v9, v29
	v_fma_f16 v16, v26, 2.0, -v40
	v_fma_f16 v26, v38, 2.0, -v30
	v_fma_f16 v29, v31, 2.0, -v43
	v_fma_f16 v18, v18, 2.0, -v44
	v_fmamk_f16 v31, v40, 0x39a8, v36
	v_fmamk_f16 v32, v30, 0x39a8, v27
	;; [unrolled: 1-line block ×4, first 2 shown]
	v_fma_f16 v33, v33, 2.0, -v25
	v_fma_f16 v13, v13, 2.0, -v45
	;; [unrolled: 1-line block ×6, first 2 shown]
	v_fmamk_f16 v38, v16, 0xb9a8, v12
	v_fmamk_f16 v39, v26, 0xb9a8, v15
	;; [unrolled: 1-line block ×6, first 2 shown]
	v_fma_f16 v9, v9, 2.0, -v22
	v_sub_f16_e32 v28, v19, v28
	v_add_f16_e32 v22, v25, v22
	v_fmac_f16_e32 v31, 0xb9a8, v30
	v_fmac_f16_e32 v32, 0x39a8, v40
	;; [unrolled: 1-line block ×4, first 2 shown]
	v_fma_f16 v24, v24, 2.0, -v19
	v_sub_f16_e32 v30, v33, v37
	v_fmamk_f16 v37, v14, 0xbb64, v13
	v_fmamk_f16 v40, v23, 0xbb64, v20
	v_fmac_f16_e32 v38, 0xb9a8, v26
	v_fmac_f16_e32 v39, 0x39a8, v16
	;; [unrolled: 1-line block ×6, first 2 shown]
	v_fma_f16 v16, v19, 2.0, -v28
	v_fma_f16 v18, v25, 2.0, -v22
	;; [unrolled: 1-line block ×6, first 2 shown]
	v_sub_f16_e32 v9, v24, v9
	v_fmac_f16_e32 v37, 0xb61f, v23
	v_fmac_f16_e32 v40, 0x361f, v14
	v_fma_f16 v12, v12, 2.0, -v38
	v_fma_f16 v14, v15, 2.0, -v39
	;; [unrolled: 1-line block ×6, first 2 shown]
	v_pack_b32_f16 v10, v10, v11
	v_pack_b32_f16 v11, v19, v25
	;; [unrolled: 1-line block ×3, first 2 shown]
	v_fma_f16 v24, v24, 2.0, -v9
	v_fma_f16 v28, v33, 2.0, -v30
	v_pack_b32_f16 v16, v16, v18
	v_pack_b32_f16 v18, v38, v39
	v_pack_b32_f16 v19, v47, v48
	v_fma_f16 v13, v13, 2.0, -v37
	v_fma_f16 v20, v20, 2.0, -v40
	v_pack_b32_f16 v26, v31, v32
	v_pack_b32_f16 v27, v34, v35
	;; [unrolled: 1-line block ×7, first 2 shown]
	ds_write2_b32 v4, v10, v11 offset0:32 offset1:80
	v_pack_b32_f16 v10, v37, v40
	v_pack_b32_f16 v24, v24, v28
	ds_write2_b32 v7, v18, v19 offset0:96 offset1:144
	v_pack_b32_f16 v7, v13, v20
	ds_write2_b32 v8, v26, v27 offset0:160 offset1:208
	ds_write2_b32 v8, v22, v25 offset0:64 offset1:112
	;; [unrolled: 1-line block ×5, first 2 shown]
	ds_write2_b32 v0, v24, v7 offset1:48
	s_waitcnt lgkmcnt(0)
	s_barrier
	buffer_gl0_inv
	s_and_saveexec_b32 s0, vcc_lo
	s_cbranch_execz .LBB0_25
; %bb.24:
	v_mul_lo_u32 v0, s3, v5
	v_mul_lo_u32 v7, s2, v6
	v_mad_u64_u32 v[5:6], null, s2, v5, 0
	v_lshl_add_u32 v19, v3, 2, 0
	v_mov_b32_e32 v4, 0
	v_add_nc_u32_e32 v9, 0x60, v3
	ds_read2_b32 v[11:12], v19 offset1:48
	v_add3_u32 v6, v6, v7, v0
	v_lshlrev_b64 v[0:1], 2, v[1:2]
	v_add_nc_u32_e32 v7, 48, v3
	v_mov_b32_e32 v8, v4
	ds_read2_b32 v[15:16], v19 offset0:96 offset1:144
	v_lshlrev_b64 v[5:6], 2, v[5:6]
	v_lshlrev_b64 v[13:14], 2, v[3:4]
	v_mov_b32_e32 v10, v4
	v_mov_b32_e32 v18, v4
	v_add_co_u32 v2, vcc_lo, s10, v5
	v_add_co_ci_u32_e32 v17, vcc_lo, s11, v6, vcc_lo
	v_lshlrev_b64 v[5:6], 2, v[7:8]
	v_add_co_u32 v20, vcc_lo, v2, v0
	v_add_co_ci_u32_e32 v21, vcc_lo, v17, v1, vcc_lo
	v_lshlrev_b64 v[0:1], 2, v[9:10]
	v_add_co_u32 v7, vcc_lo, v20, v13
	v_add_co_ci_u32_e32 v8, vcc_lo, v21, v14, vcc_lo
	v_add_co_u32 v5, vcc_lo, v20, v5
	v_add_co_ci_u32_e32 v6, vcc_lo, v21, v6, vcc_lo
	;; [unrolled: 2-line block ×3, first 2 shown]
	v_add_nc_u32_e32 v9, 0x90, v3
	v_add_nc_u32_e32 v2, 0x400, v19
	s_waitcnt lgkmcnt(1)
	global_store_dword v[7:8], v11, off
	global_store_dword v[5:6], v12, off
	s_waitcnt lgkmcnt(0)
	global_store_dword v[0:1], v15, off
	v_add_nc_u32_e32 v5, 0xc0, v3
	v_mov_b32_e32 v6, v4
	v_lshlrev_b64 v[0:1], 2, v[9:10]
	ds_read2_b32 v[9:10], v19 offset0:192 offset1:240
	v_add_nc_u32_e32 v7, 0xf0, v3
	v_mov_b32_e32 v8, v4
	ds_read2_b32 v[13:14], v2 offset0:32 offset1:80
	v_lshlrev_b64 v[5:6], 2, v[5:6]
	v_add_nc_u32_e32 v11, 0x120, v3
	v_mov_b32_e32 v12, v4
	v_add_co_u32 v0, vcc_lo, v20, v0
	v_lshlrev_b64 v[7:8], 2, v[7:8]
	v_add_co_ci_u32_e32 v1, vcc_lo, v21, v1, vcc_lo
	v_add_co_u32 v5, vcc_lo, v20, v5
	v_lshlrev_b64 v[11:12], 2, v[11:12]
	v_add_co_ci_u32_e32 v6, vcc_lo, v21, v6, vcc_lo
	v_add_co_u32 v7, vcc_lo, v20, v7
	v_add_co_ci_u32_e32 v8, vcc_lo, v21, v8, vcc_lo
	v_add_co_u32 v11, vcc_lo, v20, v11
	v_add_co_ci_u32_e32 v12, vcc_lo, v21, v12, vcc_lo
	v_add_nc_u32_e32 v17, 0x150, v3
	global_store_dword v[0:1], v16, off
	s_waitcnt lgkmcnt(1)
	global_store_dword v[5:6], v9, off
	global_store_dword v[7:8], v10, off
	s_waitcnt lgkmcnt(0)
	global_store_dword v[11:12], v13, off
	v_add_nc_u32_e32 v12, 0x600, v19
	v_add_nc_u32_e32 v5, 0x180, v3
	v_mov_b32_e32 v6, v4
	v_lshlrev_b64 v[0:1], 2, v[17:18]
	ds_read2_b32 v[9:10], v2 offset0:128 offset1:176
	v_add_nc_u32_e32 v7, 0x1b0, v3
	v_mov_b32_e32 v8, v4
	ds_read2_b32 v[15:16], v12 offset0:96 offset1:144
	v_lshlrev_b64 v[5:6], 2, v[5:6]
	v_add_nc_u32_e32 v11, 0x1e0, v3
	v_mov_b32_e32 v12, v4
	v_add_co_u32 v0, vcc_lo, v20, v0
	v_lshlrev_b64 v[7:8], 2, v[7:8]
	v_add_co_ci_u32_e32 v1, vcc_lo, v21, v1, vcc_lo
	v_add_co_u32 v5, vcc_lo, v20, v5
	v_lshlrev_b64 v[11:12], 2, v[11:12]
	v_add_co_ci_u32_e32 v6, vcc_lo, v21, v6, vcc_lo
	v_add_co_u32 v7, vcc_lo, v20, v7
	v_add_co_ci_u32_e32 v8, vcc_lo, v21, v8, vcc_lo
	v_add_co_u32 v11, vcc_lo, v20, v11
	v_add_nc_u32_e32 v17, 0x210, v3
	v_add_co_ci_u32_e32 v12, vcc_lo, v21, v12, vcc_lo
	v_add_nc_u32_e32 v2, 0x800, v19
	global_store_dword v[0:1], v14, off
	s_waitcnt lgkmcnt(1)
	global_store_dword v[5:6], v9, off
	global_store_dword v[7:8], v10, off
	s_waitcnt lgkmcnt(0)
	global_store_dword v[11:12], v15, off
	v_add_nc_u32_e32 v5, 0x240, v3
	v_mov_b32_e32 v6, v4
	v_lshlrev_b64 v[0:1], 2, v[17:18]
	v_add_nc_u32_e32 v7, 0x270, v3
	v_mov_b32_e32 v8, v4
	ds_read2_b32 v[9:10], v2 offset0:64 offset1:112
	v_lshlrev_b64 v[5:6], 2, v[5:6]
	v_add_nc_u32_e32 v11, 0x2a0, v3
	v_mov_b32_e32 v12, v4
	ds_read2_b32 v[13:14], v2 offset0:160 offset1:208
	v_add_co_u32 v0, vcc_lo, v20, v0
	v_lshlrev_b64 v[7:8], 2, v[7:8]
	v_add_nc_u32_e32 v3, 0x2d0, v3
	v_add_co_ci_u32_e32 v1, vcc_lo, v21, v1, vcc_lo
	v_add_co_u32 v5, vcc_lo, v20, v5
	v_lshlrev_b64 v[11:12], 2, v[11:12]
	v_add_co_ci_u32_e32 v6, vcc_lo, v21, v6, vcc_lo
	v_add_co_u32 v7, vcc_lo, v20, v7
	v_lshlrev_b64 v[2:3], 2, v[3:4]
	v_add_co_ci_u32_e32 v8, vcc_lo, v21, v8, vcc_lo
	v_add_co_u32 v11, vcc_lo, v20, v11
	v_add_co_ci_u32_e32 v12, vcc_lo, v21, v12, vcc_lo
	v_add_co_u32 v2, vcc_lo, v20, v2
	v_add_co_ci_u32_e32 v3, vcc_lo, v21, v3, vcc_lo
	global_store_dword v[0:1], v16, off
	s_waitcnt lgkmcnt(1)
	global_store_dword v[5:6], v9, off
	global_store_dword v[7:8], v10, off
	s_waitcnt lgkmcnt(0)
	global_store_dword v[11:12], v13, off
	global_store_dword v[2:3], v14, off
.LBB0_25:
	s_endpgm
	.section	.rodata,"a",@progbits
	.p2align	6, 0x0
	.amdhsa_kernel fft_rtc_fwd_len768_factors_16_3_16_wgs_48_tpt_48_halfLds_half_op_CI_CI_unitstride_sbrr_C2R_dirReg
		.amdhsa_group_segment_fixed_size 0
		.amdhsa_private_segment_fixed_size 0
		.amdhsa_kernarg_size 104
		.amdhsa_user_sgpr_count 6
		.amdhsa_user_sgpr_private_segment_buffer 1
		.amdhsa_user_sgpr_dispatch_ptr 0
		.amdhsa_user_sgpr_queue_ptr 0
		.amdhsa_user_sgpr_kernarg_segment_ptr 1
		.amdhsa_user_sgpr_dispatch_id 0
		.amdhsa_user_sgpr_flat_scratch_init 0
		.amdhsa_user_sgpr_private_segment_size 0
		.amdhsa_wavefront_size32 1
		.amdhsa_uses_dynamic_stack 0
		.amdhsa_system_sgpr_private_segment_wavefront_offset 0
		.amdhsa_system_sgpr_workgroup_id_x 1
		.amdhsa_system_sgpr_workgroup_id_y 0
		.amdhsa_system_sgpr_workgroup_id_z 0
		.amdhsa_system_sgpr_workgroup_info 0
		.amdhsa_system_vgpr_workitem_id 0
		.amdhsa_next_free_vgpr 79
		.amdhsa_next_free_sgpr 27
		.amdhsa_reserve_vcc 1
		.amdhsa_reserve_flat_scratch 0
		.amdhsa_float_round_mode_32 0
		.amdhsa_float_round_mode_16_64 0
		.amdhsa_float_denorm_mode_32 3
		.amdhsa_float_denorm_mode_16_64 3
		.amdhsa_dx10_clamp 1
		.amdhsa_ieee_mode 1
		.amdhsa_fp16_overflow 0
		.amdhsa_workgroup_processor_mode 1
		.amdhsa_memory_ordered 1
		.amdhsa_forward_progress 0
		.amdhsa_shared_vgpr_count 0
		.amdhsa_exception_fp_ieee_invalid_op 0
		.amdhsa_exception_fp_denorm_src 0
		.amdhsa_exception_fp_ieee_div_zero 0
		.amdhsa_exception_fp_ieee_overflow 0
		.amdhsa_exception_fp_ieee_underflow 0
		.amdhsa_exception_fp_ieee_inexact 0
		.amdhsa_exception_int_div_zero 0
	.end_amdhsa_kernel
	.text
.Lfunc_end0:
	.size	fft_rtc_fwd_len768_factors_16_3_16_wgs_48_tpt_48_halfLds_half_op_CI_CI_unitstride_sbrr_C2R_dirReg, .Lfunc_end0-fft_rtc_fwd_len768_factors_16_3_16_wgs_48_tpt_48_halfLds_half_op_CI_CI_unitstride_sbrr_C2R_dirReg
                                        ; -- End function
	.section	.AMDGPU.csdata,"",@progbits
; Kernel info:
; codeLenInByte = 8488
; NumSgprs: 29
; NumVgprs: 79
; ScratchSize: 0
; MemoryBound: 0
; FloatMode: 240
; IeeeMode: 1
; LDSByteSize: 0 bytes/workgroup (compile time only)
; SGPRBlocks: 3
; VGPRBlocks: 9
; NumSGPRsForWavesPerEU: 29
; NumVGPRsForWavesPerEU: 79
; Occupancy: 12
; WaveLimiterHint : 1
; COMPUTE_PGM_RSRC2:SCRATCH_EN: 0
; COMPUTE_PGM_RSRC2:USER_SGPR: 6
; COMPUTE_PGM_RSRC2:TRAP_HANDLER: 0
; COMPUTE_PGM_RSRC2:TGID_X_EN: 1
; COMPUTE_PGM_RSRC2:TGID_Y_EN: 0
; COMPUTE_PGM_RSRC2:TGID_Z_EN: 0
; COMPUTE_PGM_RSRC2:TIDIG_COMP_CNT: 0
	.text
	.p2alignl 6, 3214868480
	.fill 48, 4, 3214868480
	.type	__hip_cuid_4e5964c195da8bb5,@object ; @__hip_cuid_4e5964c195da8bb5
	.section	.bss,"aw",@nobits
	.globl	__hip_cuid_4e5964c195da8bb5
__hip_cuid_4e5964c195da8bb5:
	.byte	0                               ; 0x0
	.size	__hip_cuid_4e5964c195da8bb5, 1

	.ident	"AMD clang version 19.0.0git (https://github.com/RadeonOpenCompute/llvm-project roc-6.4.0 25133 c7fe45cf4b819c5991fe208aaa96edf142730f1d)"
	.section	".note.GNU-stack","",@progbits
	.addrsig
	.addrsig_sym __hip_cuid_4e5964c195da8bb5
	.amdgpu_metadata
---
amdhsa.kernels:
  - .args:
      - .actual_access:  read_only
        .address_space:  global
        .offset:         0
        .size:           8
        .value_kind:     global_buffer
      - .offset:         8
        .size:           8
        .value_kind:     by_value
      - .actual_access:  read_only
        .address_space:  global
        .offset:         16
        .size:           8
        .value_kind:     global_buffer
      - .actual_access:  read_only
        .address_space:  global
        .offset:         24
        .size:           8
        .value_kind:     global_buffer
      - .actual_access:  read_only
        .address_space:  global
        .offset:         32
        .size:           8
        .value_kind:     global_buffer
      - .offset:         40
        .size:           8
        .value_kind:     by_value
      - .actual_access:  read_only
        .address_space:  global
        .offset:         48
        .size:           8
        .value_kind:     global_buffer
      - .actual_access:  read_only
        .address_space:  global
        .offset:         56
        .size:           8
        .value_kind:     global_buffer
      - .offset:         64
        .size:           4
        .value_kind:     by_value
      - .actual_access:  read_only
        .address_space:  global
        .offset:         72
        .size:           8
        .value_kind:     global_buffer
      - .actual_access:  read_only
        .address_space:  global
        .offset:         80
        .size:           8
        .value_kind:     global_buffer
      - .actual_access:  read_only
        .address_space:  global
        .offset:         88
        .size:           8
        .value_kind:     global_buffer
      - .actual_access:  write_only
        .address_space:  global
        .offset:         96
        .size:           8
        .value_kind:     global_buffer
    .group_segment_fixed_size: 0
    .kernarg_segment_align: 8
    .kernarg_segment_size: 104
    .language:       OpenCL C
    .language_version:
      - 2
      - 0
    .max_flat_workgroup_size: 48
    .name:           fft_rtc_fwd_len768_factors_16_3_16_wgs_48_tpt_48_halfLds_half_op_CI_CI_unitstride_sbrr_C2R_dirReg
    .private_segment_fixed_size: 0
    .sgpr_count:     29
    .sgpr_spill_count: 0
    .symbol:         fft_rtc_fwd_len768_factors_16_3_16_wgs_48_tpt_48_halfLds_half_op_CI_CI_unitstride_sbrr_C2R_dirReg.kd
    .uniform_work_group_size: 1
    .uses_dynamic_stack: false
    .vgpr_count:     79
    .vgpr_spill_count: 0
    .wavefront_size: 32
    .workgroup_processor_mode: 1
amdhsa.target:   amdgcn-amd-amdhsa--gfx1030
amdhsa.version:
  - 1
  - 2
...

	.end_amdgpu_metadata
